;; amdgpu-corpus repo=ROCm/rocFFT kind=compiled arch=gfx906 opt=O3
	.text
	.amdgcn_target "amdgcn-amd-amdhsa--gfx906"
	.amdhsa_code_object_version 6
	.protected	bluestein_single_fwd_len1715_dim1_sp_op_CI_CI ; -- Begin function bluestein_single_fwd_len1715_dim1_sp_op_CI_CI
	.globl	bluestein_single_fwd_len1715_dim1_sp_op_CI_CI
	.p2align	8
	.type	bluestein_single_fwd_len1715_dim1_sp_op_CI_CI,@function
bluestein_single_fwd_len1715_dim1_sp_op_CI_CI: ; @bluestein_single_fwd_len1715_dim1_sp_op_CI_CI
; %bb.0:
	s_load_dwordx4 s[0:3], s[4:5], 0x28
	v_mul_u32_u24_e32 v1, 0x10c, v0
	v_add_u32_sdwa v38, s6, v1 dst_sel:DWORD dst_unused:UNUSED_PAD src0_sel:DWORD src1_sel:WORD_1
	v_mov_b32_e32 v39, 0
	s_waitcnt lgkmcnt(0)
	v_cmp_gt_u64_e32 vcc, s[0:1], v[38:39]
	s_and_saveexec_b64 s[0:1], vcc
	s_cbranch_execz .LBB0_15
; %bb.1:
	s_load_dwordx4 s[8:11], s[4:5], 0x18
	s_movk_i32 s0, 0xf5
	v_mul_lo_u16_sdwa v1, v1, s0 dst_sel:DWORD dst_unused:UNUSED_PAD src0_sel:WORD_1 src1_sel:DWORD
	v_sub_u16_e32 v70, v0, v1
	v_lshlrev_b32_e32 v69, 3, v70
	s_waitcnt lgkmcnt(0)
	s_load_dwordx4 s[12:15], s[8:9], 0x0
	s_load_dwordx2 s[6:7], s[4:5], 0x38
	s_waitcnt lgkmcnt(0)
	v_mad_u64_u32 v[0:1], s[0:1], s14, v38, 0
	v_mad_u64_u32 v[2:3], s[0:1], s12, v70, 0
	;; [unrolled: 1-line block ×3, first 2 shown]
	s_load_dwordx2 s[14:15], s[4:5], 0x0
	s_waitcnt lgkmcnt(0)
	global_load_dwordx2 v[47:48], v69, s[14:15]
	global_load_dwordx2 v[41:42], v69, s[14:15] offset:2744
	v_mad_u64_u32 v[5:6], s[0:1], s13, v70, v[3:4]
	v_mov_b32_e32 v1, v4
	v_lshlrev_b64 v[0:1], 3, v[0:1]
	v_mov_b32_e32 v6, s3
	v_mov_b32_e32 v3, v5
	v_add_co_u32_e32 v4, vcc, s2, v0
	v_addc_co_u32_e32 v5, vcc, v6, v1, vcc
	v_lshlrev_b64 v[0:1], 3, v[2:3]
	s_mul_i32 s0, s13, 0x157
	s_mul_hi_u32 s1, s12, 0x157
	v_add_co_u32_e32 v0, vcc, v4, v0
	v_mov_b32_e32 v2, s15
	v_add_co_u32_e64 v36, s[2:3], s14, v69
	s_add_i32 s1, s1, s0
	s_mul_i32 s0, s12, 0x157
	v_addc_co_u32_e32 v1, vcc, v5, v1, vcc
	v_addc_co_u32_e64 v37, vcc, 0, v2, s[2:3]
	s_lshl_b64 s[16:17], s[0:1], 3
	v_mov_b32_e32 v14, s17
	v_add_co_u32_e32 v2, vcc, s16, v0
	v_addc_co_u32_e32 v3, vcc, v1, v14, vcc
	v_add_co_u32_e32 v4, vcc, s16, v2
	v_addc_co_u32_e32 v5, vcc, v3, v14, vcc
	s_movk_i32 s0, 0x1000
	global_load_dwordx2 v[6:7], v[0:1], off
	global_load_dwordx2 v[8:9], v[2:3], off
	;; [unrolled: 1-line block ×3, first 2 shown]
	v_add_co_u32_e32 v0, vcc, s0, v36
	v_addc_co_u32_e32 v1, vcc, 0, v37, vcc
	v_add_co_u32_e32 v4, vcc, s16, v4
	v_addc_co_u32_e32 v5, vcc, v5, v14, vcc
	s_movk_i32 s0, 0x2000
	v_add_co_u32_e32 v2, vcc, s0, v36
	global_load_dwordx2 v[43:44], v[0:1], off offset:1392
	v_addc_co_u32_e32 v3, vcc, 0, v37, vcc
	global_load_dwordx2 v[45:46], v[2:3], off offset:40
	global_load_dwordx2 v[12:13], v[4:5], off
	v_add_co_u32_e32 v4, vcc, s16, v4
	v_addc_co_u32_e32 v5, vcc, v5, v14, vcc
	global_load_dwordx2 v[39:40], v[2:3], off offset:2784
	global_load_dwordx2 v[14:15], v[4:5], off
	s_load_dwordx4 s[8:11], s[10:11], 0x0
	s_movk_i32 s0, 0x62
	v_cmp_gt_u16_e64 s[0:1], s0, v70
	s_waitcnt vmcnt(7)
	v_mul_f32_e32 v16, v7, v48
	v_mul_f32_e32 v17, v6, v48
	v_fmac_f32_e32 v16, v6, v47
	v_fma_f32 v17, v7, v47, -v17
	s_waitcnt vmcnt(6)
	v_mul_f32_e32 v6, v9, v42
	v_mul_f32_e32 v7, v8, v42
	v_fmac_f32_e32 v6, v8, v41
	v_fma_f32 v7, v9, v41, -v7
	ds_write_b64 v69, v[6:7] offset:2744
	ds_write_b64 v69, v[16:17]
	s_waitcnt vmcnt(4)
	v_mul_f32_e32 v8, v11, v44
	v_mul_f32_e32 v9, v10, v44
	v_fmac_f32_e32 v8, v10, v43
	v_fma_f32 v9, v11, v43, -v9
	s_waitcnt vmcnt(2)
	v_mul_f32_e32 v6, v13, v46
	v_mul_f32_e32 v7, v12, v46
	ds_write_b64 v69, v[8:9] offset:5488
	v_fmac_f32_e32 v6, v12, v45
	v_fma_f32 v7, v13, v45, -v7
	s_waitcnt vmcnt(0)
	v_mul_f32_e32 v8, v15, v40
	v_mul_f32_e32 v9, v14, v40
	v_fmac_f32_e32 v8, v14, v39
	v_fma_f32 v9, v15, v39, -v9
	ds_write_b64 v69, v[6:7] offset:8232
	ds_write_b64 v69, v[8:9] offset:10976
	s_and_saveexec_b64 s[18:19], s[0:1]
	s_cbranch_execz .LBB0_3
; %bb.2:
	v_mov_b32_e32 v6, 0xffffdcc8
	v_mad_u64_u32 v[4:5], s[20:21], s12, v6, v[4:5]
	s_mulk_i32 s13, 0xdcc8
	s_sub_i32 s12, s13, s12
	v_add_u32_e32 v5, s12, v5
	global_load_dwordx2 v[6:7], v[4:5], off
	v_mov_b32_e32 v22, s17
	v_add_co_u32_e32 v4, vcc, s16, v4
	v_addc_co_u32_e32 v5, vcc, v5, v22, vcc
	global_load_dwordx2 v[8:9], v[4:5], off
	global_load_dwordx2 v[10:11], v[36:37], off offset:1960
	global_load_dwordx2 v[12:13], v[0:1], off offset:608
	v_add_co_u32_e32 v4, vcc, s16, v4
	v_addc_co_u32_e32 v5, vcc, v5, v22, vcc
	global_load_dwordx2 v[14:15], v[4:5], off
	v_add_co_u32_e32 v4, vcc, s16, v4
	v_addc_co_u32_e32 v5, vcc, v5, v22, vcc
	global_load_dwordx2 v[16:17], v[4:5], off
	global_load_dwordx2 v[18:19], v[0:1], off offset:3352
	global_load_dwordx2 v[20:21], v[2:3], off offset:2000
	v_add_co_u32_e32 v0, vcc, s16, v4
	v_addc_co_u32_e32 v1, vcc, v5, v22, vcc
	v_add_co_u32_e32 v2, vcc, 0x3000, v36
	v_addc_co_u32_e32 v3, vcc, 0, v37, vcc
	global_load_dwordx2 v[4:5], v[2:3], off offset:648
	global_load_dwordx2 v[22:23], v[0:1], off
	s_waitcnt vmcnt(7)
	v_mul_f32_e32 v0, v7, v11
	v_mul_f32_e32 v1, v6, v11
	v_fmac_f32_e32 v0, v6, v10
	v_fma_f32 v1, v7, v10, -v1
	s_waitcnt vmcnt(6)
	v_mul_f32_e32 v2, v9, v13
	v_mul_f32_e32 v3, v8, v13
	ds_write_b64 v69, v[0:1] offset:1960
	v_fmac_f32_e32 v2, v8, v12
	v_fma_f32 v3, v9, v12, -v3
	ds_write_b64 v69, v[2:3] offset:4704
	s_waitcnt vmcnt(3)
	v_mul_f32_e32 v0, v15, v19
	v_mul_f32_e32 v1, v14, v19
	v_fmac_f32_e32 v0, v14, v18
	v_fma_f32 v1, v15, v18, -v1
	s_waitcnt vmcnt(2)
	v_mul_f32_e32 v2, v17, v21
	v_mul_f32_e32 v3, v16, v21
	ds_write_b64 v69, v[0:1] offset:7448
	v_fmac_f32_e32 v2, v16, v20
	v_fma_f32 v3, v17, v20, -v3
	ds_write_b64 v69, v[2:3] offset:10192
	s_waitcnt vmcnt(0)
	v_mul_f32_e32 v0, v23, v5
	v_mul_f32_e32 v1, v22, v5
	v_fmac_f32_e32 v0, v22, v4
	v_fma_f32 v1, v23, v4, -v1
	ds_write_b64 v69, v[0:1] offset:12936
.LBB0_3:
	s_or_b64 exec, exec, s[18:19]
	s_waitcnt lgkmcnt(0)
	s_barrier
	ds_read_b64 v[10:11], v69
	ds_read_b64 v[12:13], v69 offset:2744
	ds_read_b64 v[14:15], v69 offset:5488
	;; [unrolled: 1-line block ×4, first 2 shown]
	s_load_dwordx2 s[4:5], s[4:5], 0x8
                                        ; implicit-def: $vgpr0
                                        ; implicit-def: $vgpr2
                                        ; implicit-def: $vgpr4
                                        ; implicit-def: $vgpr6
                                        ; implicit-def: $vgpr8
	s_and_saveexec_b64 s[12:13], s[0:1]
	s_cbranch_execz .LBB0_5
; %bb.4:
	ds_read_b64 v[0:1], v69 offset:1960
	ds_read_b64 v[2:3], v69 offset:4704
	;; [unrolled: 1-line block ×5, first 2 shown]
.LBB0_5:
	s_or_b64 exec, exec, s[12:13]
	s_waitcnt lgkmcnt(0)
	v_add_f32_e32 v21, v14, v16
	v_fma_f32 v22, -0.5, v21, v10
	v_sub_f32_e32 v21, v13, v19
	v_mov_b32_e32 v24, v22
	v_fmac_f32_e32 v24, 0x3f737871, v21
	v_sub_f32_e32 v23, v15, v17
	v_sub_f32_e32 v25, v12, v14
	;; [unrolled: 1-line block ×3, first 2 shown]
	v_fmac_f32_e32 v22, 0xbf737871, v21
	v_fmac_f32_e32 v24, 0x3f167918, v23
	v_add_f32_e32 v25, v25, v26
	v_fmac_f32_e32 v22, 0xbf167918, v23
	v_fmac_f32_e32 v24, 0x3e9e377a, v25
	;; [unrolled: 1-line block ×3, first 2 shown]
	v_add_f32_e32 v25, v12, v18
	v_add_f32_e32 v20, v10, v12
	v_fma_f32 v10, -0.5, v25, v10
	v_mov_b32_e32 v26, v10
	v_fmac_f32_e32 v26, 0xbf737871, v23
	v_sub_f32_e32 v25, v14, v12
	v_sub_f32_e32 v27, v16, v18
	v_fmac_f32_e32 v10, 0x3f737871, v23
	v_add_f32_e32 v23, v15, v17
	v_add_f32_e32 v20, v20, v14
	v_fmac_f32_e32 v26, 0x3f167918, v21
	v_add_f32_e32 v25, v25, v27
	v_fmac_f32_e32 v10, 0xbf167918, v21
	v_fma_f32 v23, -0.5, v23, v11
	v_add_f32_e32 v20, v20, v16
	v_fmac_f32_e32 v26, 0x3e9e377a, v25
	v_fmac_f32_e32 v10, 0x3e9e377a, v25
	v_sub_f32_e32 v12, v12, v18
	v_mov_b32_e32 v25, v23
	v_add_f32_e32 v20, v20, v18
	v_fmac_f32_e32 v25, 0xbf737871, v12
	v_sub_f32_e32 v14, v14, v16
	v_sub_f32_e32 v16, v13, v15
	;; [unrolled: 1-line block ×3, first 2 shown]
	v_fmac_f32_e32 v23, 0x3f737871, v12
	v_add_f32_e32 v21, v11, v13
	v_fmac_f32_e32 v25, 0xbf167918, v14
	v_add_f32_e32 v16, v16, v18
	;; [unrolled: 2-line block ×3, first 2 shown]
	v_fmac_f32_e32 v25, 0x3e9e377a, v16
	v_fmac_f32_e32 v23, 0x3e9e377a, v16
	v_add_f32_e32 v16, v13, v19
	v_sub_f32_e32 v13, v15, v13
	v_sub_f32_e32 v15, v17, v19
	v_fmac_f32_e32 v11, -0.5, v16
	v_add_f32_e32 v13, v13, v15
	v_sub_f32_e32 v15, v2, v4
	v_sub_f32_e32 v16, v8, v6
	v_mov_b32_e32 v27, v11
	v_add_f32_e32 v15, v15, v16
	v_add_f32_e32 v16, v2, v8
	v_fmac_f32_e32 v27, 0x3f737871, v14
	v_fmac_f32_e32 v11, 0xbf737871, v14
	v_fma_f32 v53, -0.5, v16, v0
	v_add_f32_e32 v21, v21, v17
	v_fmac_f32_e32 v27, 0xbf167918, v12
	v_fmac_f32_e32 v11, 0x3f167918, v12
	v_sub_f32_e32 v14, v5, v7
	v_mov_b32_e32 v51, v53
	v_add_f32_e32 v21, v21, v19
	v_fmac_f32_e32 v27, 0x3e9e377a, v13
	v_fmac_f32_e32 v11, 0x3e9e377a, v13
	v_sub_f32_e32 v13, v3, v9
	v_fmac_f32_e32 v51, 0xbf737871, v14
	v_sub_f32_e32 v16, v4, v2
	v_sub_f32_e32 v17, v6, v8
	v_fmac_f32_e32 v53, 0x3f737871, v14
	v_sub_f32_e32 v19, v3, v5
	v_sub_f32_e32 v29, v9, v7
	v_fmac_f32_e32 v51, 0x3f167918, v13
	v_add_f32_e32 v16, v16, v17
	v_fmac_f32_e32 v53, 0xbf167918, v13
	v_add_f32_e32 v19, v19, v29
	v_add_f32_e32 v29, v3, v9
	;; [unrolled: 1-line block ×3, first 2 shown]
	v_fmac_f32_e32 v51, 0x3e9e377a, v16
	v_fmac_f32_e32 v53, 0x3e9e377a, v16
	v_add_f32_e32 v16, v5, v7
	v_fma_f32 v54, -0.5, v29, v1
	v_fma_f32 v12, -0.5, v12, v0
	v_fma_f32 v16, -0.5, v16, v1
	v_sub_f32_e32 v18, v4, v6
	v_mov_b32_e32 v52, v54
	v_mov_b32_e32 v49, v12
	v_sub_f32_e32 v17, v2, v8
	v_mov_b32_e32 v50, v16
	v_fmac_f32_e32 v52, 0x3f737871, v18
	v_sub_f32_e32 v29, v5, v3
	v_sub_f32_e32 v30, v7, v9
	v_fmac_f32_e32 v54, 0xbf737871, v18
	v_fmac_f32_e32 v49, 0xbf737871, v13
	;; [unrolled: 1-line block ×4, first 2 shown]
	v_add_f32_e32 v29, v29, v30
	v_fmac_f32_e32 v54, 0x3f167918, v17
	v_add_co_u32_e32 v28, vcc, 0xf5, v70
	v_fmac_f32_e32 v49, 0xbf167918, v14
	v_fmac_f32_e32 v50, 0x3f167918, v18
	;; [unrolled: 1-line block ×4, first 2 shown]
	v_mul_lo_u16_e32 v29, 5, v70
	v_fmac_f32_e32 v49, 0x3e9e377a, v15
	v_fmac_f32_e32 v50, 0x3e9e377a, v19
	v_lshlrev_b32_e32 v72, 3, v29
	v_mul_u32_u24_e32 v71, 5, v28
	s_barrier
	ds_write2_b64 v72, v[20:21], v[24:25] offset1:1
	ds_write2_b64 v72, v[26:27], v[10:11] offset0:2 offset1:3
	ds_write_b64 v72, v[22:23] offset:32
	s_and_saveexec_b64 s[12:13], s[0:1]
	s_cbranch_execz .LBB0_7
; %bb.6:
	v_mul_f32_e32 v11, 0x3f737871, v13
	v_mul_f32_e32 v10, 0x3f737871, v17
	v_add_f32_e32 v1, v1, v3
	v_add_f32_e32 v0, v0, v2
	v_mul_f32_e32 v13, 0x3f167918, v14
	v_mul_f32_e32 v14, 0x3e9e377a, v15
	;; [unrolled: 1-line block ×3, first 2 shown]
	v_sub_f32_e32 v10, v16, v10
	v_add_f32_e32 v1, v1, v5
	v_add_f32_e32 v3, v12, v11
	;; [unrolled: 1-line block ×3, first 2 shown]
	v_mul_f32_e32 v17, 0x3e9e377a, v19
	v_sub_f32_e32 v10, v10, v15
	v_add_f32_e32 v1, v1, v7
	v_add_f32_e32 v3, v13, v3
	;; [unrolled: 1-line block ×7, first 2 shown]
	v_lshlrev_b32_e32 v2, 3, v71
	ds_write2_b64 v2, v[0:1], v[9:10] offset1:1
	ds_write2_b64 v2, v[51:52], v[53:54] offset0:2 offset1:3
	ds_write_b64 v2, v[49:50] offset:32
.LBB0_7:
	s_or_b64 exec, exec, s[12:13]
	s_movk_i32 s12, 0xcd
	v_mul_lo_u16_sdwa v0, v70, s12 dst_sel:DWORD dst_unused:UNUSED_PAD src0_sel:BYTE_0 src1_sel:DWORD
	v_lshrrev_b16_e32 v26, 10, v0
	v_mul_lo_u16_e32 v0, 5, v26
	v_sub_u16_e32 v0, v70, v0
	v_and_b32_e32 v27, 0xff, v0
	v_mul_u32_u24_e32 v0, 6, v27
	v_lshlrev_b32_e32 v12, 3, v0
	s_waitcnt lgkmcnt(0)
	s_barrier
	global_load_dwordx4 v[8:11], v12, s[4:5]
	global_load_dwordx4 v[4:7], v12, s[4:5] offset:16
	global_load_dwordx4 v[0:3], v12, s[4:5] offset:32
	v_add_u32_e32 v60, 0xf00, v69
	v_add_u32_e32 v59, 0x1e80, v69
	ds_read2_b64 v[12:15], v69 offset1:245
	ds_read_b64 v[24:25], v69 offset:11760
	ds_read2_b64 v[16:19], v60 offset0:10 offset1:255
	ds_read2_b64 v[20:23], v59 offset0:4 offset1:249
	s_mov_b32 s12, 0x3f5ff5aa
	s_mov_b32 s13, 0x3f3bfb3b
	;; [unrolled: 1-line block ×4, first 2 shown]
	v_mul_u32_u24_e32 v26, 35, v26
	v_add_lshl_u32 v73, v26, v27, 3
	s_movk_i32 s17, 0xeb
	s_waitcnt vmcnt(0) lgkmcnt(0)
	s_barrier
	v_mul_f32_e32 v28, v15, v9
	v_mul_f32_e32 v29, v14, v9
	;; [unrolled: 1-line block ×12, first 2 shown]
	v_fma_f32 v14, v14, v8, -v28
	v_fmac_f32_e32 v29, v15, v8
	v_fma_f32 v15, v16, v10, -v30
	v_fmac_f32_e32 v31, v17, v10
	;; [unrolled: 2-line block ×6, first 2 shown]
	v_add_f32_e32 v20, v14, v19
	v_add_f32_e32 v21, v29, v58
	;; [unrolled: 1-line block ×4, first 2 shown]
	v_sub_f32_e32 v14, v14, v19
	v_sub_f32_e32 v19, v29, v58
	v_add_f32_e32 v24, v16, v17
	v_add_f32_e32 v25, v33, v35
	v_add_f32_e32 v28, v22, v20
	v_add_f32_e32 v29, v23, v21
	v_sub_f32_e32 v15, v15, v18
	v_sub_f32_e32 v18, v31, v56
	;; [unrolled: 1-line block ×10, first 2 shown]
	v_add_f32_e32 v24, v24, v28
	v_add_f32_e32 v25, v25, v29
	;; [unrolled: 1-line block ×4, first 2 shown]
	v_sub_f32_e32 v34, v16, v15
	v_sub_f32_e32 v35, v17, v18
	v_add_f32_e32 v12, v12, v24
	v_add_f32_e32 v13, v13, v25
	v_sub_f32_e32 v16, v14, v16
	v_sub_f32_e32 v17, v19, v17
	;; [unrolled: 1-line block ×4, first 2 shown]
	v_add_f32_e32 v14, v32, v14
	v_add_f32_e32 v19, v33, v19
	v_mul_f32_e32 v20, 0x3f4a47b2, v20
	v_mul_f32_e32 v21, 0x3f4a47b2, v21
	;; [unrolled: 1-line block ×5, first 2 shown]
	v_mov_b32_e32 v55, v12
	v_mov_b32_e32 v56, v13
	v_mul_f32_e32 v29, 0x3d64c772, v23
	v_mul_f32_e32 v34, 0x3f5ff5aa, v15
	;; [unrolled: 1-line block ×3, first 2 shown]
	v_fma_f32 v28, v30, s13, -v28
	v_fma_f32 v30, v30, s14, -v20
	v_fmac_f32_e32 v55, 0xbf955555, v24
	v_fmac_f32_e32 v56, 0xbf955555, v25
	v_fmac_f32_e32 v20, 0x3d64c772, v22
	v_fma_f32 v22, v31, s14, -v21
	v_fmac_f32_e32 v21, 0x3d64c772, v23
	v_fma_f32 v23, v15, s12, -v32
	v_fmac_f32_e32 v32, 0x3eae86e6, v16
	;; [unrolled: 2-line block ×3, first 2 shown]
	v_fma_f32 v29, v31, s13, -v29
	v_fma_f32 v25, v16, s16, -v34
	;; [unrolled: 1-line block ×3, first 2 shown]
	v_add_f32_e32 v34, v20, v55
	v_add_f32_e32 v35, v21, v56
	v_fmac_f32_e32 v32, 0x3ee1c552, v14
	v_fmac_f32_e32 v33, 0x3ee1c552, v19
	v_add_f32_e32 v20, v28, v55
	v_add_f32_e32 v21, v29, v56
	;; [unrolled: 1-line block ×4, first 2 shown]
	v_fmac_f32_e32 v23, 0x3ee1c552, v14
	v_fmac_f32_e32 v24, 0x3ee1c552, v19
	;; [unrolled: 1-line block ×4, first 2 shown]
	v_add_f32_e32 v14, v33, v34
	v_sub_f32_e32 v15, v35, v32
	v_add_f32_e32 v16, v31, v28
	v_sub_f32_e32 v17, v29, v25
	v_sub_f32_e32 v18, v20, v24
	v_add_f32_e32 v19, v23, v21
	v_add_f32_e32 v20, v24, v20
	v_sub_f32_e32 v21, v21, v23
	v_sub_f32_e32 v22, v28, v31
	v_add_f32_e32 v23, v25, v29
	v_sub_f32_e32 v24, v34, v33
	v_add_f32_e32 v25, v32, v35
	ds_write2_b64 v73, v[12:13], v[14:15] offset1:5
	ds_write2_b64 v73, v[16:17], v[18:19] offset0:10 offset1:15
	ds_write2_b64 v73, v[20:21], v[22:23] offset0:20 offset1:25
	ds_write_b64 v73, v[24:25] offset:240
	v_mul_lo_u16_sdwa v12, v70, s17 dst_sel:DWORD dst_unused:UNUSED_PAD src0_sel:BYTE_0 src1_sel:DWORD
	v_lshrrev_b16_e32 v57, 13, v12
	v_mul_lo_u16_e32 v12, 35, v57
	v_sub_u16_e32 v12, v70, v12
	v_and_b32_e32 v58, 0xff, v12
	v_mad_u64_u32 v[24:25], s[18:19], v58, 48, s[4:5]
	s_waitcnt lgkmcnt(0)
	s_barrier
	global_load_dwordx4 v[20:23], v[24:25], off offset:240
	global_load_dwordx4 v[16:19], v[24:25], off offset:256
	;; [unrolled: 1-line block ×3, first 2 shown]
	ds_read2_b64 v[24:27], v69 offset1:245
	ds_read2_b64 v[28:31], v60 offset0:10 offset1:255
	ds_read2_b64 v[32:35], v59 offset0:4 offset1:249
	ds_read_b64 v[55:56], v69 offset:11760
	v_mul_u32_u24_e32 v57, 0xf5, v57
	s_waitcnt vmcnt(0) lgkmcnt(0)
	s_barrier
	v_mul_f32_e32 v61, v27, v21
	v_mul_f32_e32 v62, v26, v21
	;; [unrolled: 1-line block ×11, first 2 shown]
	v_fma_f32 v26, v26, v20, -v61
	v_fmac_f32_e32 v62, v27, v20
	v_fma_f32 v27, v28, v22, -v63
	v_fma_f32 v28, v30, v16, -v65
	v_fmac_f32_e32 v66, v31, v16
	v_fma_f32 v30, v34, v12, -v74
	v_fma_f32 v31, v55, v14, -v76
	v_mul_f32_e32 v68, v32, v19
	v_fmac_f32_e32 v64, v29, v22
	v_fma_f32 v29, v32, v18, -v67
	v_fmac_f32_e32 v75, v35, v12
	v_fmac_f32_e32 v77, v56, v14
	v_add_f32_e32 v32, v26, v31
	v_add_f32_e32 v34, v27, v30
	v_fmac_f32_e32 v68, v33, v18
	v_add_f32_e32 v33, v62, v77
	v_add_f32_e32 v35, v64, v75
	;; [unrolled: 1-line block ×4, first 2 shown]
	v_sub_f32_e32 v26, v26, v31
	v_sub_f32_e32 v31, v62, v77
	v_add_f32_e32 v56, v66, v68
	v_add_f32_e32 v62, v35, v33
	v_sub_f32_e32 v63, v34, v32
	v_sub_f32_e32 v32, v32, v55
	;; [unrolled: 1-line block ×3, first 2 shown]
	v_add_f32_e32 v55, v55, v61
	v_sub_f32_e32 v27, v27, v30
	v_sub_f32_e32 v30, v64, v75
	;; [unrolled: 1-line block ×7, first 2 shown]
	v_add_f32_e32 v56, v56, v62
	v_add_f32_e32 v24, v24, v55
	;; [unrolled: 1-line block ×4, first 2 shown]
	v_sub_f32_e32 v67, v28, v27
	v_sub_f32_e32 v68, v29, v30
	;; [unrolled: 1-line block ×4, first 2 shown]
	v_add_f32_e32 v25, v25, v56
	v_mov_b32_e32 v74, v24
	v_sub_f32_e32 v28, v26, v28
	v_sub_f32_e32 v29, v31, v29
	v_add_f32_e32 v26, v65, v26
	v_add_f32_e32 v31, v66, v31
	v_mul_f32_e32 v32, 0x3f4a47b2, v32
	v_mul_f32_e32 v33, 0x3f4a47b2, v33
	;; [unrolled: 1-line block ×8, first 2 shown]
	v_fmac_f32_e32 v74, 0xbf955555, v55
	v_mov_b32_e32 v55, v25
	v_fmac_f32_e32 v55, 0xbf955555, v56
	v_fma_f32 v56, v63, s13, -v61
	v_fma_f32 v61, v64, s13, -v62
	;; [unrolled: 1-line block ×3, first 2 shown]
	v_fmac_f32_e32 v32, 0x3d64c772, v34
	v_fma_f32 v34, v64, s14, -v33
	v_fmac_f32_e32 v33, 0x3d64c772, v35
	v_fma_f32 v35, v27, s12, -v65
	v_fmac_f32_e32 v65, 0x3eae86e6, v28
	v_fma_f32 v63, v30, s12, -v66
	v_fmac_f32_e32 v66, 0x3eae86e6, v29
	v_fma_f32 v64, v28, s16, -v67
	v_fma_f32 v67, v29, s16, -v68
	v_add_f32_e32 v68, v32, v74
	v_add_f32_e32 v75, v33, v55
	;; [unrolled: 1-line block ×6, first 2 shown]
	v_fmac_f32_e32 v65, 0x3ee1c552, v26
	v_fmac_f32_e32 v66, 0x3ee1c552, v31
	;; [unrolled: 1-line block ×6, first 2 shown]
	v_add_f32_e32 v26, v66, v68
	v_sub_f32_e32 v27, v75, v65
	v_add_f32_e32 v28, v67, v56
	v_sub_f32_e32 v29, v55, v64
	;; [unrolled: 2-line block ×3, first 2 shown]
	v_sub_f32_e32 v34, v56, v67
	v_add_f32_e32 v35, v64, v55
	v_sub_f32_e32 v55, v68, v66
	v_add_f32_e32 v56, v65, v75
	v_add_lshl_u32 v74, v57, v58, 3
	v_sub_f32_e32 v30, v32, v63
	v_add_f32_e32 v32, v63, v32
	ds_write2_b64 v74, v[24:25], v[26:27] offset1:35
	ds_write2_b64 v74, v[28:29], v[30:31] offset0:70 offset1:105
	ds_write2_b64 v74, v[32:33], v[34:35] offset0:140 offset1:175
	ds_write_b64 v74, v[55:56] offset:1680
	v_mad_u64_u32 v[55:56], s[4:5], v70, 48, s[4:5]
	s_waitcnt lgkmcnt(0)
	s_barrier
	global_load_dwordx4 v[32:35], v[55:56], off offset:1920
	global_load_dwordx4 v[28:31], v[55:56], off offset:1936
	;; [unrolled: 1-line block ×3, first 2 shown]
	ds_read2_b64 v[55:58], v60 offset0:10 offset1:255
	ds_read2_b64 v[61:64], v59 offset0:4 offset1:249
	ds_read_b64 v[65:66], v69 offset:11760
	s_waitcnt vmcnt(2) lgkmcnt(2)
	v_mul_f32_e32 v67, v56, v35
	v_fma_f32 v67, v55, v34, -v67
	v_mul_f32_e32 v68, v55, v35
	s_waitcnt vmcnt(1)
	v_mul_f32_e32 v55, v58, v29
	v_fma_f32 v75, v57, v28, -v55
	s_waitcnt lgkmcnt(1)
	v_mul_f32_e32 v55, v62, v31
	v_mul_f32_e32 v76, v57, v29
	v_fma_f32 v77, v61, v30, -v55
	s_waitcnt vmcnt(0)
	v_mul_f32_e32 v55, v64, v25
	v_fmac_f32_e32 v68, v56, v34
	v_fmac_f32_e32 v76, v58, v28
	v_fma_f32 v79, v63, v24, -v55
	ds_read2_b64 v[55:58], v69 offset1:245
	v_mul_f32_e32 v78, v61, v31
	v_mul_f32_e32 v63, v63, v25
	s_waitcnt lgkmcnt(1)
	v_mul_f32_e32 v61, v66, v27
	v_fmac_f32_e32 v63, v64, v24
	v_fma_f32 v64, v65, v26, -v61
	v_mul_f32_e32 v65, v65, v27
	s_waitcnt lgkmcnt(0)
	v_mul_f32_e32 v61, v58, v33
	v_fmac_f32_e32 v65, v66, v26
	v_fma_f32 v66, v57, v32, -v61
	v_mul_f32_e32 v57, v57, v33
	v_fmac_f32_e32 v57, v58, v32
	v_add_f32_e32 v58, v66, v64
	v_add_f32_e32 v80, v67, v79
	v_fmac_f32_e32 v78, v62, v30
	v_add_f32_e32 v81, v75, v77
	v_add_f32_e32 v61, v80, v58
	;; [unrolled: 1-line block ×10, first 2 shown]
	v_sub_f32_e32 v55, v66, v64
	v_sub_f32_e32 v56, v57, v65
	;; [unrolled: 1-line block ×10, first 2 shown]
	v_mul_f32_e32 v58, 0x3f4a47b2, v58
	v_mul_f32_e32 v81, 0x3d64c772, v67
	v_sub_f32_e32 v63, v68, v63
	v_sub_f32_e32 v68, v84, v83
	v_add_f32_e32 v77, v64, v57
	v_sub_f32_e32 v78, v64, v57
	v_sub_f32_e32 v57, v57, v55
	v_fma_f32 v81, v66, s13, -v81
	v_fma_f32 v66, v66, s14, -v58
	v_fmac_f32_e32 v58, 0x3d64c772, v67
	v_mul_f32_e32 v67, 0x3f4a47b2, v75
	v_mul_f32_e32 v75, 0x3d64c772, v76
	v_sub_f32_e32 v64, v55, v64
	v_add_f32_e32 v55, v77, v55
	v_add_f32_e32 v77, v65, v63
	v_sub_f32_e32 v79, v65, v63
	v_sub_f32_e32 v63, v63, v56
	v_fma_f32 v75, v68, s13, -v75
	v_fma_f32 v68, v68, s14, -v67
	v_fmac_f32_e32 v67, 0x3d64c772, v76
	v_mul_f32_e32 v78, 0xbf08b237, v78
	v_mul_f32_e32 v76, 0x3f5ff5aa, v57
	v_sub_f32_e32 v65, v56, v65
	v_add_f32_e32 v56, v77, v56
	v_mov_b32_e32 v77, v61
	v_fma_f32 v57, v57, s12, -v78
	v_fmac_f32_e32 v78, 0x3eae86e6, v64
	v_fma_f32 v76, v64, s16, -v76
	v_mul_f32_e32 v64, 0x3f5ff5aa, v63
	v_fmac_f32_e32 v77, 0xbf955555, v82
	v_mov_b32_e32 v80, v62
	v_mul_f32_e32 v79, 0xbf08b237, v79
	v_fma_f32 v83, v65, s16, -v64
	v_fmac_f32_e32 v80, 0xbf955555, v86
	v_fma_f32 v82, v63, s12, -v79
	v_fmac_f32_e32 v79, 0x3eae86e6, v65
	v_add_f32_e32 v58, v58, v77
	v_add_f32_e32 v65, v81, v77
	;; [unrolled: 1-line block ×3, first 2 shown]
	v_fmac_f32_e32 v83, 0x3ee1c552, v56
	v_add_f32_e32 v81, v67, v80
	v_add_f32_e32 v66, v75, v80
	;; [unrolled: 1-line block ×3, first 2 shown]
	v_fmac_f32_e32 v78, 0x3ee1c552, v55
	v_fmac_f32_e32 v79, 0x3ee1c552, v56
	;; [unrolled: 1-line block ×4, first 2 shown]
	v_add_f32_e32 v67, v83, v77
	v_sub_f32_e32 v55, v77, v83
	v_mov_b32_e32 v77, s15
	v_fmac_f32_e32 v82, 0x3ee1c552, v56
	v_add_f32_e32 v64, v57, v66
	v_sub_f32_e32 v66, v66, v57
	v_sub_f32_e32 v68, v75, v76
	v_add_f32_e32 v56, v76, v75
	v_add_f32_e32 v75, v79, v58
	v_sub_f32_e32 v76, v81, v78
	v_sub_f32_e32 v57, v58, v79
	v_addc_co_u32_e64 v79, vcc, 0, v77, s[2:3]
	s_movk_i32 s3, 0x3000
	v_sub_f32_e32 v63, v65, v82
	v_add_f32_e32 v65, v82, v65
	v_add_f32_e32 v58, v78, v81
	ds_write2_b64 v69, v[61:62], v[75:76] offset1:245
	ds_write2_b64 v60, v[67:68], v[63:64] offset0:10 offset1:255
	ds_write2_b64 v59, v[65:66], v[55:56] offset0:4 offset1:249
	ds_write_b64 v69, v[57:58] offset:11760
	v_add_co_u32_e32 v59, vcc, s3, v36
	s_movk_i32 s2, 0x3598
	v_addc_co_u32_e32 v60, vcc, 0, v79, vcc
	s_waitcnt lgkmcnt(0)
	s_barrier
	global_load_dwordx2 v[61:62], v[59:60], off offset:1432
	v_add_co_u32_e32 v59, vcc, s2, v36
	v_addc_co_u32_e32 v60, vcc, 0, v79, vcc
	s_movk_i32 s2, 0x4000
	v_add_co_u32_e32 v63, vcc, s2, v36
	v_addc_co_u32_e32 v64, vcc, 0, v79, vcc
	s_movk_i32 s2, 0x5000
	v_add_co_u32_e32 v65, vcc, s2, v36
	v_addc_co_u32_e32 v66, vcc, 0, v79, vcc
	global_load_dwordx2 v[67:68], v[63:64], off offset:2824
	global_load_dwordx2 v[75:76], v[65:66], off offset:1472
	;; [unrolled: 1-line block ×3, first 2 shown]
	v_add_co_u32_e32 v63, vcc, 0x6000, v36
	v_addc_co_u32_e32 v64, vcc, 0, v79, vcc
	global_load_dwordx2 v[63:64], v[63:64], off offset:120
	ds_read_b64 v[65:66], v69
	ds_read_b64 v[79:80], v69 offset:2744
	ds_read_b64 v[81:82], v69 offset:5488
	;; [unrolled: 1-line block ×3, first 2 shown]
	s_waitcnt vmcnt(4) lgkmcnt(3)
	v_mul_f32_e32 v85, v66, v62
	v_mul_f32_e32 v86, v65, v62
	v_fma_f32 v85, v65, v61, -v85
	v_fmac_f32_e32 v86, v66, v61
	s_waitcnt vmcnt(2) lgkmcnt(0)
	v_mul_f32_e32 v65, v84, v76
	s_waitcnt vmcnt(1)
	v_mul_f32_e32 v61, v80, v78
	v_mul_f32_e32 v62, v79, v78
	v_fma_f32 v61, v79, v77, -v61
	v_fmac_f32_e32 v62, v80, v77
	ds_write_b64 v69, v[85:86]
	ds_write_b64 v69, v[61:62] offset:2744
	v_mul_f32_e32 v61, v82, v68
	v_mul_f32_e32 v62, v81, v68
	v_fma_f32 v61, v81, v67, -v61
	v_fmac_f32_e32 v62, v82, v67
	ds_write_b64 v69, v[61:62] offset:5488
	ds_read_b64 v[61:62], v69 offset:10976
	v_mul_f32_e32 v66, v83, v76
	v_fma_f32 v65, v83, v75, -v65
	v_fmac_f32_e32 v66, v84, v75
	ds_write_b64 v69, v[65:66] offset:8232
	s_waitcnt vmcnt(0) lgkmcnt(1)
	v_mul_f32_e32 v65, v62, v64
	v_mul_f32_e32 v66, v61, v64
	v_fma_f32 v65, v61, v63, -v65
	v_fmac_f32_e32 v66, v62, v63
	ds_write_b64 v69, v[65:66] offset:10976
	s_and_saveexec_b64 s[2:3], s[0:1]
	s_cbranch_execz .LBB0_9
; %bb.8:
	v_add_co_u32_e32 v63, vcc, 0x1000, v59
	v_addc_co_u32_e32 v64, vcc, 0, v60, vcc
	s_movk_i32 s4, 0x2000
	global_load_dwordx2 v[61:62], v[59:60], off offset:1960
	global_load_dwordx2 v[65:66], v[63:64], off offset:608
	;; [unrolled: 1-line block ×3, first 2 shown]
	v_add_co_u32_e32 v63, vcc, s4, v59
	v_addc_co_u32_e32 v64, vcc, 0, v60, vcc
	v_add_co_u32_e32 v59, vcc, 0x3000, v59
	v_addc_co_u32_e32 v60, vcc, 0, v60, vcc
	global_load_dwordx2 v[63:64], v[63:64], off offset:2000
	s_nop 0
	global_load_dwordx2 v[59:60], v[59:60], off offset:648
	ds_read_b64 v[75:76], v69 offset:1960
	ds_read_b64 v[77:78], v69 offset:4704
	;; [unrolled: 1-line block ×5, first 2 shown]
	s_waitcnt vmcnt(4) lgkmcnt(4)
	v_mul_f32_e32 v85, v76, v62
	v_mul_f32_e32 v86, v75, v62
	v_fma_f32 v85, v75, v61, -v85
	v_fmac_f32_e32 v86, v76, v61
	s_waitcnt vmcnt(3) lgkmcnt(3)
	v_mul_f32_e32 v61, v78, v66
	v_mul_f32_e32 v62, v77, v66
	s_waitcnt vmcnt(2) lgkmcnt(2)
	v_mul_f32_e32 v75, v80, v68
	v_mul_f32_e32 v66, v79, v68
	v_fma_f32 v61, v77, v65, -v61
	v_fmac_f32_e32 v62, v78, v65
	ds_write_b64 v69, v[85:86] offset:1960
	v_fma_f32 v65, v79, v67, -v75
	v_fmac_f32_e32 v66, v80, v67
	s_waitcnt vmcnt(1) lgkmcnt(2)
	v_mul_f32_e32 v68, v82, v64
	v_mul_f32_e32 v67, v81, v64
	ds_write_b64 v69, v[61:62] offset:4704
	ds_write_b64 v69, v[65:66] offset:7448
	s_waitcnt vmcnt(0) lgkmcnt(3)
	v_mul_f32_e32 v62, v84, v60
	v_mul_f32_e32 v61, v83, v60
	v_fma_f32 v66, v81, v63, -v68
	v_fmac_f32_e32 v67, v82, v63
	v_fma_f32 v60, v83, v59, -v62
	v_fmac_f32_e32 v61, v84, v59
	ds_write_b64 v69, v[66:67] offset:10192
	ds_write_b64 v69, v[60:61] offset:12936
.LBB0_9:
	s_or_b64 exec, exec, s[2:3]
	s_waitcnt lgkmcnt(0)
	s_barrier
	ds_read_b64 v[59:60], v69
	ds_read_b64 v[61:62], v69 offset:2744
	ds_read_b64 v[63:64], v69 offset:5488
	;; [unrolled: 1-line block ×4, first 2 shown]
	s_and_saveexec_b64 s[2:3], s[0:1]
	s_cbranch_execz .LBB0_11
; %bb.10:
	ds_read_b64 v[55:56], v69 offset:1960
	ds_read_b64 v[57:58], v69 offset:4704
	;; [unrolled: 1-line block ×5, first 2 shown]
.LBB0_11:
	s_or_b64 exec, exec, s[2:3]
	s_waitcnt lgkmcnt(1)
	v_add_f32_e32 v76, v63, v65
	v_fma_f32 v77, -0.5, v76, v59
	s_waitcnt lgkmcnt(0)
	v_sub_f32_e32 v76, v62, v68
	v_mov_b32_e32 v79, v77
	v_fmac_f32_e32 v79, 0xbf737871, v76
	v_sub_f32_e32 v78, v64, v66
	v_sub_f32_e32 v80, v61, v63
	;; [unrolled: 1-line block ×3, first 2 shown]
	v_fmac_f32_e32 v77, 0x3f737871, v76
	v_fmac_f32_e32 v79, 0xbf167918, v78
	v_add_f32_e32 v80, v80, v81
	v_fmac_f32_e32 v77, 0x3f167918, v78
	v_fmac_f32_e32 v79, 0x3e9e377a, v80
	;; [unrolled: 1-line block ×3, first 2 shown]
	v_add_f32_e32 v80, v61, v67
	v_add_f32_e32 v75, v59, v61
	v_fma_f32 v59, -0.5, v80, v59
	v_mov_b32_e32 v81, v59
	v_fmac_f32_e32 v81, 0x3f737871, v78
	v_sub_f32_e32 v80, v63, v61
	v_sub_f32_e32 v82, v65, v67
	v_fmac_f32_e32 v59, 0xbf737871, v78
	v_add_f32_e32 v78, v64, v66
	v_add_f32_e32 v75, v75, v63
	v_fmac_f32_e32 v81, 0xbf167918, v76
	v_add_f32_e32 v80, v80, v82
	v_fmac_f32_e32 v59, 0x3f167918, v76
	v_fma_f32 v78, -0.5, v78, v60
	v_add_f32_e32 v75, v75, v65
	v_fmac_f32_e32 v81, 0x3e9e377a, v80
	v_fmac_f32_e32 v59, 0x3e9e377a, v80
	v_sub_f32_e32 v61, v61, v67
	v_mov_b32_e32 v80, v78
	v_add_f32_e32 v75, v75, v67
	v_fmac_f32_e32 v80, 0x3f737871, v61
	v_sub_f32_e32 v63, v63, v65
	v_sub_f32_e32 v65, v62, v64
	;; [unrolled: 1-line block ×3, first 2 shown]
	v_fmac_f32_e32 v78, 0xbf737871, v61
	v_fmac_f32_e32 v80, 0x3f167918, v63
	v_add_f32_e32 v65, v65, v67
	v_fmac_f32_e32 v78, 0xbf167918, v63
	v_fmac_f32_e32 v80, 0x3e9e377a, v65
	;; [unrolled: 1-line block ×3, first 2 shown]
	v_add_f32_e32 v65, v62, v68
	v_add_f32_e32 v76, v60, v62
	v_fmac_f32_e32 v60, -0.5, v65
	v_add_f32_e32 v76, v76, v64
	v_mov_b32_e32 v82, v60
	v_add_f32_e32 v76, v76, v66
	v_fmac_f32_e32 v82, 0xbf737871, v63
	v_sub_f32_e32 v62, v64, v62
	v_sub_f32_e32 v64, v66, v68
	v_fmac_f32_e32 v60, 0x3f737871, v63
	v_add_f32_e32 v76, v76, v68
	v_fmac_f32_e32 v82, 0x3f167918, v61
	v_add_f32_e32 v62, v62, v64
	v_fmac_f32_e32 v60, 0xbf167918, v61
	v_fmac_f32_e32 v82, 0x3e9e377a, v62
	;; [unrolled: 1-line block ×3, first 2 shown]
	s_barrier
	ds_write2_b64 v72, v[75:76], v[79:80] offset1:1
	ds_write2_b64 v72, v[81:82], v[59:60] offset0:2 offset1:3
	ds_write_b64 v72, v[77:78] offset:32
	s_and_saveexec_b64 s[2:3], s[0:1]
	s_cbranch_execz .LBB0_13
; %bb.12:
	v_sub_f32_e32 v59, v52, v58
	v_sub_f32_e32 v60, v54, v50
	v_add_f32_e32 v60, v59, v60
	v_add_f32_e32 v59, v58, v50
	v_fma_f32 v59, -0.5, v59, v56
	v_sub_f32_e32 v62, v51, v53
	v_mov_b32_e32 v61, v59
	v_fmac_f32_e32 v61, 0x3f737871, v62
	v_sub_f32_e32 v64, v57, v49
	v_fmac_f32_e32 v59, 0xbf737871, v62
	v_fmac_f32_e32 v61, 0xbf167918, v64
	;; [unrolled: 1-line block ×5, first 2 shown]
	v_sub_f32_e32 v60, v58, v52
	v_sub_f32_e32 v63, v50, v54
	v_add_f32_e32 v60, v60, v63
	v_add_f32_e32 v63, v52, v54
	v_fma_f32 v63, -0.5, v63, v56
	v_add_f32_e32 v56, v56, v58
	v_mov_b32_e32 v65, v63
	v_add_f32_e32 v56, v56, v52
	v_fmac_f32_e32 v65, 0xbf737871, v64
	v_fmac_f32_e32 v63, 0x3f737871, v64
	v_add_f32_e32 v56, v56, v54
	v_fmac_f32_e32 v65, 0xbf167918, v62
	v_fmac_f32_e32 v63, 0x3f167918, v62
	v_add_f32_e32 v56, v56, v50
	v_sub_f32_e32 v50, v58, v50
	v_add_f32_e32 v58, v57, v49
	v_fmac_f32_e32 v65, 0x3e9e377a, v60
	v_fmac_f32_e32 v63, 0x3e9e377a, v60
	v_sub_f32_e32 v60, v51, v57
	v_sub_f32_e32 v62, v53, v49
	v_fma_f32 v58, -0.5, v58, v55
	v_add_f32_e32 v62, v60, v62
	v_sub_f32_e32 v52, v52, v54
	v_mov_b32_e32 v60, v58
	v_fmac_f32_e32 v60, 0xbf737871, v52
	v_fmac_f32_e32 v58, 0x3f737871, v52
	;; [unrolled: 1-line block ×6, first 2 shown]
	v_sub_f32_e32 v54, v57, v51
	v_sub_f32_e32 v62, v49, v53
	v_add_f32_e32 v54, v54, v62
	v_add_f32_e32 v62, v51, v53
	v_fma_f32 v62, -0.5, v62, v55
	v_mov_b32_e32 v64, v62
	v_fmac_f32_e32 v64, 0x3f737871, v50
	v_fmac_f32_e32 v62, 0xbf737871, v50
	v_add_f32_e32 v50, v55, v57
	v_add_f32_e32 v50, v50, v51
	v_fmac_f32_e32 v62, 0xbf167918, v52
	v_add_f32_e32 v50, v50, v53
	v_fmac_f32_e32 v64, 0x3f167918, v52
	v_fmac_f32_e32 v62, 0x3e9e377a, v54
	v_add_f32_e32 v55, v50, v49
	v_lshlrev_b32_e32 v49, 3, v71
	v_fmac_f32_e32 v64, 0x3e9e377a, v54
	ds_write2_b64 v49, v[55:56], v[62:63] offset1:1
	ds_write2_b64 v49, v[58:59], v[60:61] offset0:2 offset1:3
	ds_write_b64 v49, v[64:65] offset:32
.LBB0_13:
	s_or_b64 exec, exec, s[2:3]
	s_waitcnt lgkmcnt(0)
	s_barrier
	ds_read2_b64 v[49:52], v69 offset1:245
	v_add_u32_e32 v63, 0xf00, v69
	ds_read2_b64 v[53:56], v63 offset0:10 offset1:255
	v_add_u32_e32 v64, 0x1e80, v69
	ds_read2_b64 v[57:60], v64 offset0:4 offset1:249
	ds_read_b64 v[61:62], v69 offset:11760
	s_waitcnt lgkmcnt(3)
	v_mul_f32_e32 v65, v9, v52
	v_mul_f32_e32 v9, v9, v51
	v_fmac_f32_e32 v65, v8, v51
	v_fma_f32 v8, v8, v52, -v9
	s_waitcnt lgkmcnt(2)
	v_mul_f32_e32 v9, v11, v54
	v_mul_f32_e32 v11, v11, v53
	v_fmac_f32_e32 v9, v10, v53
	v_fma_f32 v10, v10, v54, -v11
	v_mul_f32_e32 v11, v5, v56
	v_mul_f32_e32 v5, v5, v55
	v_fmac_f32_e32 v11, v4, v55
	v_fma_f32 v4, v4, v56, -v5
	s_waitcnt lgkmcnt(1)
	v_mul_f32_e32 v5, v7, v58
	v_mul_f32_e32 v7, v7, v57
	v_fmac_f32_e32 v5, v6, v57
	v_fma_f32 v6, v6, v58, -v7
	;; [unrolled: 9-line block ×3, first 2 shown]
	v_add_f32_e32 v3, v65, v1
	v_add_f32_e32 v51, v8, v2
	v_sub_f32_e32 v2, v8, v2
	v_add_f32_e32 v8, v9, v7
	v_add_f32_e32 v52, v10, v0
	v_sub_f32_e32 v7, v9, v7
	v_sub_f32_e32 v0, v10, v0
	v_add_f32_e32 v9, v11, v5
	v_add_f32_e32 v10, v4, v6
	v_sub_f32_e32 v4, v6, v4
	v_add_f32_e32 v6, v8, v3
	v_sub_f32_e32 v5, v5, v11
	v_add_f32_e32 v11, v52, v51
	v_add_f32_e32 v6, v9, v6
	v_sub_f32_e32 v1, v65, v1
	v_sub_f32_e32 v53, v8, v3
	;; [unrolled: 1-line block ×4, first 2 shown]
	v_add_f32_e32 v55, v5, v7
	v_add_f32_e32 v56, v4, v0
	v_sub_f32_e32 v58, v4, v0
	v_sub_f32_e32 v59, v0, v2
	v_add_f32_e32 v9, v10, v11
	v_add_f32_e32 v0, v49, v6
	v_sub_f32_e32 v54, v52, v51
	v_sub_f32_e32 v51, v51, v10
	;; [unrolled: 1-line block ×6, first 2 shown]
	v_add_f32_e32 v10, v55, v1
	v_add_f32_e32 v1, v50, v9
	v_mul_f32_e32 v55, 0x3f08b237, v58
	v_mov_b32_e32 v58, v0
	v_sub_f32_e32 v4, v2, v4
	v_add_f32_e32 v2, v56, v2
	v_mul_f32_e32 v3, 0x3f4a47b2, v3
	v_mul_f32_e32 v11, 0x3f4a47b2, v51
	;; [unrolled: 1-line block ×5, first 2 shown]
	s_mov_b32 s2, 0xbf5ff5aa
	v_mul_f32_e32 v56, 0xbf5ff5aa, v7
	v_mul_f32_e32 v57, 0xbf5ff5aa, v59
	v_fmac_f32_e32 v58, 0xbf955555, v6
	v_mov_b32_e32 v6, v1
	s_mov_b32 s4, 0x3f3bfb3b
	s_mov_b32 s3, 0xbf3bfb3b
	;; [unrolled: 1-line block ×3, first 2 shown]
	v_fmac_f32_e32 v6, 0xbf955555, v9
	v_fma_f32 v9, v53, s4, -v49
	v_fma_f32 v49, v54, s4, -v50
	;; [unrolled: 1-line block ×3, first 2 shown]
	v_fmac_f32_e32 v3, 0x3d64c772, v8
	v_fma_f32 v8, v54, s3, -v11
	v_fmac_f32_e32 v11, 0x3d64c772, v52
	v_fma_f32 v52, v7, s2, -v51
	v_fmac_f32_e32 v51, 0xbeae86e6, v5
	v_fma_f32 v53, v59, s2, -v55
	v_fmac_f32_e32 v55, 0xbeae86e6, v4
	v_fma_f32 v54, v5, s5, -v56
	v_fma_f32 v56, v4, s5, -v57
	v_add_f32_e32 v57, v3, v58
	v_add_f32_e32 v59, v11, v6
	;; [unrolled: 1-line block ×6, first 2 shown]
	v_fmac_f32_e32 v51, 0xbee1c552, v10
	v_fmac_f32_e32 v55, 0xbee1c552, v2
	;; [unrolled: 1-line block ×6, first 2 shown]
	v_add_f32_e32 v2, v55, v57
	v_sub_f32_e32 v3, v59, v51
	v_add_f32_e32 v4, v56, v49
	v_sub_f32_e32 v5, v50, v54
	v_sub_f32_e32 v6, v9, v53
	v_add_f32_e32 v7, v52, v11
	v_add_f32_e32 v8, v53, v9
	v_sub_f32_e32 v9, v11, v52
	v_sub_f32_e32 v10, v49, v56
	v_add_f32_e32 v11, v54, v50
	v_sub_f32_e32 v49, v57, v55
	v_add_f32_e32 v50, v51, v59
	s_barrier
	ds_write2_b64 v73, v[0:1], v[2:3] offset1:5
	ds_write2_b64 v73, v[4:5], v[6:7] offset0:10 offset1:15
	ds_write2_b64 v73, v[8:9], v[10:11] offset0:20 offset1:25
	ds_write_b64 v73, v[49:50] offset:240
	s_waitcnt lgkmcnt(0)
	s_barrier
	ds_read2_b64 v[0:3], v69 offset1:245
	ds_read2_b64 v[4:7], v63 offset0:10 offset1:255
	ds_read2_b64 v[8:11], v64 offset0:4 offset1:249
	ds_read_b64 v[49:50], v69 offset:11760
	s_waitcnt lgkmcnt(0)
	v_mul_f32_e32 v51, v21, v3
	v_fmac_f32_e32 v51, v20, v2
	v_mul_f32_e32 v2, v21, v2
	v_fma_f32 v2, v20, v3, -v2
	v_mul_f32_e32 v3, v23, v5
	v_fmac_f32_e32 v3, v22, v4
	v_mul_f32_e32 v4, v23, v4
	v_fma_f32 v4, v22, v5, -v4
	;; [unrolled: 4-line block ×5, first 2 shown]
	v_mul_f32_e32 v11, v15, v50
	v_mul_f32_e32 v12, v15, v49
	v_fmac_f32_e32 v11, v14, v49
	v_fma_f32 v12, v14, v50, -v12
	v_add_f32_e32 v13, v51, v11
	v_add_f32_e32 v14, v2, v12
	v_sub_f32_e32 v2, v2, v12
	v_add_f32_e32 v12, v3, v9
	v_add_f32_e32 v15, v4, v10
	v_sub_f32_e32 v3, v3, v9
	v_add_f32_e32 v9, v5, v7
	v_sub_f32_e32 v5, v7, v5
	;; [unrolled: 2-line block ×4, first 2 shown]
	v_add_f32_e32 v8, v15, v14
	v_add_f32_e32 v7, v9, v7
	;; [unrolled: 1-line block ×4, first 2 shown]
	v_sub_f32_e32 v11, v51, v11
	v_sub_f32_e32 v16, v12, v13
	;; [unrolled: 1-line block ×7, first 2 shown]
	v_add_f32_e32 v18, v5, v3
	v_add_f32_e32 v19, v6, v4
	v_sub_f32_e32 v20, v5, v3
	v_sub_f32_e32 v21, v6, v4
	v_add_f32_e32 v1, v1, v8
	v_mov_b32_e32 v22, v0
	v_sub_f32_e32 v5, v11, v5
	v_sub_f32_e32 v6, v2, v6
	;; [unrolled: 1-line block ×4, first 2 shown]
	v_add_f32_e32 v9, v18, v11
	v_add_f32_e32 v2, v19, v2
	v_mul_f32_e32 v10, 0x3f4a47b2, v13
	v_mul_f32_e32 v11, 0x3f4a47b2, v14
	;; [unrolled: 1-line block ×6, first 2 shown]
	v_fmac_f32_e32 v22, 0xbf955555, v7
	v_mov_b32_e32 v7, v1
	v_mul_f32_e32 v20, 0xbf5ff5aa, v3
	v_mul_f32_e32 v21, 0xbf5ff5aa, v4
	v_fmac_f32_e32 v7, 0xbf955555, v8
	v_fma_f32 v8, v16, s4, -v13
	v_fma_f32 v13, v17, s4, -v14
	;; [unrolled: 1-line block ×3, first 2 shown]
	v_fmac_f32_e32 v10, 0x3d64c772, v12
	v_fma_f32 v12, v17, s3, -v11
	v_fmac_f32_e32 v11, 0x3d64c772, v15
	v_fma_f32 v15, v3, s2, -v18
	;; [unrolled: 2-line block ×4, first 2 shown]
	v_fma_f32 v20, v6, s5, -v21
	v_add_f32_e32 v21, v10, v22
	v_add_f32_e32 v23, v11, v7
	v_fmac_f32_e32 v18, 0xbee1c552, v9
	v_fmac_f32_e32 v19, 0xbee1c552, v2
	v_add_f32_e32 v8, v8, v22
	v_add_f32_e32 v10, v13, v7
	;; [unrolled: 1-line block ×4, first 2 shown]
	v_fmac_f32_e32 v15, 0xbee1c552, v9
	v_fmac_f32_e32 v16, 0xbee1c552, v2
	;; [unrolled: 1-line block ×4, first 2 shown]
	v_add_f32_e32 v2, v19, v21
	v_sub_f32_e32 v3, v23, v18
	v_add_f32_e32 v4, v20, v11
	v_sub_f32_e32 v5, v12, v17
	v_sub_f32_e32 v6, v8, v16
	v_add_f32_e32 v7, v15, v10
	v_add_f32_e32 v8, v16, v8
	v_sub_f32_e32 v9, v10, v15
	v_sub_f32_e32 v10, v11, v20
	v_add_f32_e32 v11, v17, v12
	v_sub_f32_e32 v12, v21, v19
	v_add_f32_e32 v13, v18, v23
	s_barrier
	ds_write2_b64 v74, v[0:1], v[2:3] offset1:35
	ds_write2_b64 v74, v[4:5], v[6:7] offset0:70 offset1:105
	ds_write2_b64 v74, v[8:9], v[10:11] offset0:140 offset1:175
	ds_write_b64 v74, v[12:13] offset:1680
	s_waitcnt lgkmcnt(0)
	s_barrier
	ds_read2_b64 v[0:3], v69 offset1:245
	ds_read2_b64 v[4:7], v63 offset0:10 offset1:255
	ds_read2_b64 v[8:11], v64 offset0:4 offset1:249
	ds_read_b64 v[14:15], v69 offset:11760
	v_mad_u64_u32 v[12:13], s[12:13], s10, v38, 0
	s_waitcnt lgkmcnt(3)
	v_mul_f32_e32 v16, v33, v3
	v_fmac_f32_e32 v16, v32, v2
	v_mul_f32_e32 v2, v33, v2
	v_fma_f32 v2, v32, v3, -v2
	s_waitcnt lgkmcnt(2)
	v_mul_f32_e32 v3, v35, v5
	v_fmac_f32_e32 v3, v34, v4
	v_mul_f32_e32 v4, v35, v4
	v_fma_f32 v4, v34, v5, -v4
	v_mul_f32_e32 v5, v29, v7
	v_fmac_f32_e32 v5, v28, v6
	v_mul_f32_e32 v6, v29, v6
	v_fma_f32 v6, v28, v7, -v6
	s_waitcnt lgkmcnt(1)
	v_mul_f32_e32 v7, v31, v9
	v_fmac_f32_e32 v7, v30, v8
	v_mul_f32_e32 v8, v31, v8
	v_fma_f32 v8, v30, v9, -v8
	;; [unrolled: 9-line block ×3, first 2 shown]
	v_add_f32_e32 v15, v16, v11
	v_add_f32_e32 v17, v2, v14
	v_sub_f32_e32 v2, v2, v14
	v_add_f32_e32 v14, v3, v9
	v_sub_f32_e32 v11, v16, v11
	;; [unrolled: 2-line block ×6, first 2 shown]
	v_add_f32_e32 v8, v16, v17
	v_add_f32_e32 v7, v9, v7
	;; [unrolled: 1-line block ×4, first 2 shown]
	v_sub_f32_e32 v18, v14, v15
	v_sub_f32_e32 v19, v16, v17
	;; [unrolled: 1-line block ×6, first 2 shown]
	v_add_f32_e32 v20, v5, v3
	v_add_f32_e32 v21, v6, v4
	v_sub_f32_e32 v22, v5, v3
	v_sub_f32_e32 v23, v6, v4
	v_add_f32_e32 v1, v1, v8
	v_mov_b32_e32 v24, v0
	v_sub_f32_e32 v5, v11, v5
	v_sub_f32_e32 v6, v2, v6
	;; [unrolled: 1-line block ×4, first 2 shown]
	v_add_f32_e32 v9, v20, v11
	v_add_f32_e32 v2, v21, v2
	v_mul_f32_e32 v10, 0x3f4a47b2, v15
	v_mul_f32_e32 v11, 0x3f4a47b2, v17
	;; [unrolled: 1-line block ×6, first 2 shown]
	v_fmac_f32_e32 v24, 0xbf955555, v7
	v_mov_b32_e32 v7, v1
	v_mul_f32_e32 v22, 0xbf5ff5aa, v3
	v_mul_f32_e32 v23, 0xbf5ff5aa, v4
	v_fmac_f32_e32 v7, 0xbf955555, v8
	v_fma_f32 v8, v18, s4, -v15
	v_fma_f32 v15, v19, s4, -v17
	;; [unrolled: 1-line block ×3, first 2 shown]
	v_fmac_f32_e32 v10, 0x3d64c772, v14
	v_fma_f32 v14, v19, s3, -v11
	v_fmac_f32_e32 v11, 0x3d64c772, v16
	v_fma_f32 v16, v3, s2, -v20
	;; [unrolled: 2-line block ×4, first 2 shown]
	v_fma_f32 v22, v6, s5, -v23
	v_add_f32_e32 v23, v10, v24
	v_add_f32_e32 v25, v11, v7
	v_fmac_f32_e32 v20, 0xbee1c552, v9
	v_fmac_f32_e32 v21, 0xbee1c552, v2
	v_add_f32_e32 v8, v8, v24
	v_add_f32_e32 v10, v15, v7
	;; [unrolled: 1-line block ×4, first 2 shown]
	v_fmac_f32_e32 v16, 0xbee1c552, v9
	v_fmac_f32_e32 v18, 0xbee1c552, v2
	v_fmac_f32_e32 v19, 0xbee1c552, v9
	v_fmac_f32_e32 v22, 0xbee1c552, v2
	v_add_f32_e32 v2, v21, v23
	v_sub_f32_e32 v3, v25, v20
	v_add_f32_e32 v4, v22, v11
	v_sub_f32_e32 v5, v14, v19
	v_sub_f32_e32 v6, v8, v18
	v_add_f32_e32 v7, v16, v10
	v_add_f32_e32 v8, v18, v8
	v_sub_f32_e32 v9, v10, v16
	v_sub_f32_e32 v10, v11, v22
	v_add_f32_e32 v11, v19, v14
	v_sub_f32_e32 v14, v23, v21
	v_add_f32_e32 v15, v20, v25
	ds_write2_b64 v69, v[0:1], v[2:3] offset1:245
	ds_write2_b64 v63, v[4:5], v[6:7] offset0:10 offset1:255
	ds_write2_b64 v64, v[8:9], v[10:11] offset0:4 offset1:249
	ds_write_b64 v69, v[14:15] offset:11760
	s_waitcnt lgkmcnt(0)
	s_barrier
	ds_read_b64 v[0:1], v69
	s_mov_b32 s2, 0xde1d8e4
	s_mov_b32 s3, 0x3f431b51
	ds_read_b64 v[3:4], v69 offset:2744
	ds_read_b64 v[5:6], v69 offset:5488
	;; [unrolled: 1-line block ×3, first 2 shown]
	v_mad_u64_u32 v[14:15], s[4:5], s8, v70, 0
	s_waitcnt lgkmcnt(3)
	v_mul_f32_e32 v9, v48, v1
	v_fmac_f32_e32 v9, v47, v0
	v_mul_f32_e32 v0, v48, v0
	v_fma_f32 v0, v47, v1, -v0
	v_cvt_f64_f32_e32 v[9:10], v9
	v_cvt_f64_f32_e32 v[0:1], v0
	v_mov_b32_e32 v2, v13
	s_waitcnt lgkmcnt(2)
	v_mad_u64_u32 v[16:17], s[4:5], s11, v38, v[2:3]
	v_mul_f64 v[9:10], v[9:10], s[2:3]
	v_mul_f64 v[0:1], v[0:1], s[2:3]
	v_mov_b32_e32 v2, v15
	v_mad_u64_u32 v[17:18], s[4:5], s9, v70, v[2:3]
	v_mul_f32_e32 v2, v42, v4
	v_mov_b32_e32 v13, v16
	v_fmac_f32_e32 v2, v41, v3
	v_cvt_f32_f64_e32 v9, v[9:10]
	v_cvt_f32_f64_e32 v10, v[0:1]
	v_lshlrev_b64 v[0:1], 3, v[12:13]
	v_cvt_f64_f32_e32 v[11:12], v2
	v_mul_f32_e32 v2, v42, v3
	v_fma_f32 v2, v41, v4, -v2
	v_cvt_f64_f32_e32 v[2:3], v2
	v_mov_b32_e32 v13, s7
	v_add_co_u32_e32 v4, vcc, s6, v0
	v_addc_co_u32_e32 v13, vcc, v13, v1, vcc
	v_mul_f64 v[0:1], v[11:12], s[2:3]
	v_mul_f64 v[2:3], v[2:3], s[2:3]
	v_mov_b32_e32 v15, v17
	v_lshlrev_b64 v[11:12], 3, v[14:15]
	s_mul_i32 s4, s9, 0x157
	v_add_co_u32_e32 v11, vcc, v4, v11
	s_waitcnt lgkmcnt(1)
	v_mul_f32_e32 v4, v44, v5
	v_cvt_f32_f64_e32 v0, v[0:1]
	v_cvt_f32_f64_e32 v1, v[2:3]
	v_mul_f32_e32 v2, v44, v6
	v_fmac_f32_e32 v2, v43, v5
	v_cvt_f64_f32_e32 v[2:3], v2
	v_fma_f32 v4, v43, v6, -v4
	v_cvt_f64_f32_e32 v[4:5], v4
	s_mul_hi_u32 s5, s8, 0x157
	v_mul_f64 v[2:3], v[2:3], s[2:3]
	s_add_i32 s5, s5, s4
	v_mul_f64 v[4:5], v[4:5], s[2:3]
	s_mul_i32 s4, s8, 0x157
	v_addc_co_u32_e32 v12, vcc, v13, v12, vcc
	s_lshl_b64 s[4:5], s[4:5], 3
	global_store_dwordx2 v[11:12], v[9:10], off
	v_mov_b32_e32 v13, s5
	v_add_co_u32_e32 v9, vcc, s4, v11
	v_addc_co_u32_e32 v10, vcc, v12, v13, vcc
	global_store_dwordx2 v[9:10], v[0:1], off
	v_cvt_f32_f64_e32 v0, v[2:3]
	s_waitcnt lgkmcnt(0)
	v_mul_f32_e32 v2, v46, v8
	v_fmac_f32_e32 v2, v45, v7
	v_cvt_f32_f64_e32 v1, v[4:5]
	v_cvt_f64_f32_e32 v[2:3], v2
	v_mul_f32_e32 v4, v46, v7
	ds_read_b64 v[6:7], v69 offset:10976
	v_fma_f32 v4, v45, v8, -v4
	v_add_co_u32_e32 v8, vcc, s4, v9
	v_mul_f64 v[2:3], v[2:3], s[2:3]
	v_addc_co_u32_e32 v9, vcc, v10, v13, vcc
	s_waitcnt lgkmcnt(0)
	v_mul_f32_e32 v10, v40, v7
	v_cvt_f64_f32_e32 v[4:5], v4
	v_fmac_f32_e32 v10, v39, v6
	v_mul_f32_e32 v6, v40, v6
	v_fma_f32 v6, v39, v7, -v6
	v_cvt_f64_f32_e32 v[10:11], v10
	v_cvt_f64_f32_e32 v[6:7], v6
	v_mul_f64 v[4:5], v[4:5], s[2:3]
	global_store_dwordx2 v[8:9], v[0:1], off
	v_cvt_f32_f64_e32 v0, v[2:3]
	v_mul_f64 v[2:3], v[10:11], s[2:3]
	v_mul_f64 v[6:7], v[6:7], s[2:3]
	v_cvt_f32_f64_e32 v1, v[4:5]
	v_add_co_u32_e32 v4, vcc, s4, v8
	v_cvt_f32_f64_e32 v2, v[2:3]
	v_cvt_f32_f64_e32 v3, v[6:7]
	v_addc_co_u32_e32 v5, vcc, v9, v13, vcc
	global_store_dwordx2 v[4:5], v[0:1], off
	v_add_co_u32_e32 v0, vcc, s4, v4
	v_addc_co_u32_e32 v1, vcc, v5, v13, vcc
	global_store_dwordx2 v[0:1], v[2:3], off
	s_and_b64 exec, exec, s[0:1]
	s_cbranch_execz .LBB0_15
; %bb.14:
	s_movk_i32 s0, 0x1000
	v_add_co_u32_e32 v4, vcc, s0, v36
	v_addc_co_u32_e32 v5, vcc, 0, v37, vcc
	s_movk_i32 s0, 0x2000
	v_add_co_u32_e32 v6, vcc, s0, v36
	global_load_dwordx2 v[2:3], v[36:37], off offset:1960
	v_addc_co_u32_e32 v7, vcc, 0, v37, vcc
	s_movk_i32 s0, 0x3000
	global_load_dwordx2 v[8:9], v[4:5], off offset:608
	global_load_dwordx2 v[10:11], v[4:5], off offset:3352
	;; [unrolled: 1-line block ×3, first 2 shown]
	v_add_co_u32_e32 v4, vcc, s0, v36
	v_addc_co_u32_e32 v5, vcc, 0, v37, vcc
	global_load_dwordx2 v[4:5], v[4:5], off offset:648
	v_mov_b32_e32 v6, 0xffffdcc8
	v_mad_u64_u32 v[0:1], s[0:1], s8, v6, v[0:1]
	ds_read_b64 v[6:7], v69 offset:1960
	ds_read_b64 v[14:15], v69 offset:4704
	;; [unrolled: 1-line block ×5, first 2 shown]
	s_mul_i32 s6, s9, 0xffffdcc8
	s_sub_i32 s0, s6, s8
	v_mov_b32_e32 v28, s5
	v_add_u32_e32 v1, s0, v1
	v_add_co_u32_e32 v22, vcc, s4, v0
	v_addc_co_u32_e32 v23, vcc, v1, v28, vcc
	v_add_co_u32_e32 v24, vcc, s4, v22
	v_addc_co_u32_e32 v25, vcc, v23, v28, vcc
	;; [unrolled: 2-line block ×3, first 2 shown]
	s_waitcnt vmcnt(4) lgkmcnt(4)
	v_mul_f32_e32 v29, v7, v3
	v_mul_f32_e32 v3, v6, v3
	v_fmac_f32_e32 v29, v6, v2
	v_fma_f32 v6, v2, v7, -v3
	v_cvt_f64_f32_e32 v[2:3], v29
	s_waitcnt vmcnt(3) lgkmcnt(3)
	v_mul_f32_e32 v29, v15, v9
	v_mul_f32_e32 v9, v14, v9
	v_cvt_f64_f32_e32 v[6:7], v6
	s_waitcnt vmcnt(2) lgkmcnt(2)
	v_mul_f32_e32 v30, v17, v11
	v_mul_f32_e32 v11, v16, v11
	s_waitcnt vmcnt(0) lgkmcnt(0)
	v_mul_f32_e32 v32, v21, v5
	v_mul_f32_e32 v5, v20, v5
	v_fmac_f32_e32 v29, v14, v8
	v_fma_f32 v8, v8, v15, -v9
	v_mul_f32_e32 v31, v19, v13
	v_mul_f32_e32 v13, v18, v13
	v_fmac_f32_e32 v30, v16, v10
	v_fma_f32 v14, v10, v17, -v11
	v_fmac_f32_e32 v32, v20, v4
	v_fma_f32 v20, v4, v21, -v5
	v_cvt_f64_f32_e32 v[4:5], v29
	v_cvt_f64_f32_e32 v[8:9], v8
	v_fmac_f32_e32 v31, v18, v12
	v_fma_f32 v16, v12, v19, -v13
	v_cvt_f64_f32_e32 v[10:11], v30
	v_cvt_f64_f32_e32 v[12:13], v14
	;; [unrolled: 1-line block ×6, first 2 shown]
	v_mul_f64 v[2:3], v[2:3], s[2:3]
	v_mul_f64 v[6:7], v[6:7], s[2:3]
	;; [unrolled: 1-line block ×10, first 2 shown]
	v_cvt_f32_f64_e32 v2, v[2:3]
	v_cvt_f32_f64_e32 v3, v[6:7]
	v_cvt_f32_f64_e32 v4, v[4:5]
	v_cvt_f32_f64_e32 v5, v[8:9]
	v_cvt_f32_f64_e32 v6, v[10:11]
	v_cvt_f32_f64_e32 v7, v[12:13]
	v_cvt_f32_f64_e32 v10, v[18:19]
	v_cvt_f32_f64_e32 v11, v[20:21]
	v_cvt_f32_f64_e32 v8, v[14:15]
	v_cvt_f32_f64_e32 v9, v[16:17]
	global_store_dwordx2 v[0:1], v[2:3], off
	global_store_dwordx2 v[22:23], v[4:5], off
	;; [unrolled: 1-line block ×4, first 2 shown]
	v_add_co_u32_e32 v0, vcc, s4, v26
	v_addc_co_u32_e32 v1, vcc, v27, v28, vcc
	global_store_dwordx2 v[0:1], v[10:11], off
.LBB0_15:
	s_endpgm
	.section	.rodata,"a",@progbits
	.p2align	6, 0x0
	.amdhsa_kernel bluestein_single_fwd_len1715_dim1_sp_op_CI_CI
		.amdhsa_group_segment_fixed_size 13720
		.amdhsa_private_segment_fixed_size 0
		.amdhsa_kernarg_size 104
		.amdhsa_user_sgpr_count 6
		.amdhsa_user_sgpr_private_segment_buffer 1
		.amdhsa_user_sgpr_dispatch_ptr 0
		.amdhsa_user_sgpr_queue_ptr 0
		.amdhsa_user_sgpr_kernarg_segment_ptr 1
		.amdhsa_user_sgpr_dispatch_id 0
		.amdhsa_user_sgpr_flat_scratch_init 0
		.amdhsa_user_sgpr_private_segment_size 0
		.amdhsa_uses_dynamic_stack 0
		.amdhsa_system_sgpr_private_segment_wavefront_offset 0
		.amdhsa_system_sgpr_workgroup_id_x 1
		.amdhsa_system_sgpr_workgroup_id_y 0
		.amdhsa_system_sgpr_workgroup_id_z 0
		.amdhsa_system_sgpr_workgroup_info 0
		.amdhsa_system_vgpr_workitem_id 0
		.amdhsa_next_free_vgpr 87
		.amdhsa_next_free_sgpr 22
		.amdhsa_reserve_vcc 1
		.amdhsa_reserve_flat_scratch 0
		.amdhsa_float_round_mode_32 0
		.amdhsa_float_round_mode_16_64 0
		.amdhsa_float_denorm_mode_32 3
		.amdhsa_float_denorm_mode_16_64 3
		.amdhsa_dx10_clamp 1
		.amdhsa_ieee_mode 1
		.amdhsa_fp16_overflow 0
		.amdhsa_exception_fp_ieee_invalid_op 0
		.amdhsa_exception_fp_denorm_src 0
		.amdhsa_exception_fp_ieee_div_zero 0
		.amdhsa_exception_fp_ieee_overflow 0
		.amdhsa_exception_fp_ieee_underflow 0
		.amdhsa_exception_fp_ieee_inexact 0
		.amdhsa_exception_int_div_zero 0
	.end_amdhsa_kernel
	.text
.Lfunc_end0:
	.size	bluestein_single_fwd_len1715_dim1_sp_op_CI_CI, .Lfunc_end0-bluestein_single_fwd_len1715_dim1_sp_op_CI_CI
                                        ; -- End function
	.section	.AMDGPU.csdata,"",@progbits
; Kernel info:
; codeLenInByte = 8500
; NumSgprs: 26
; NumVgprs: 87
; ScratchSize: 0
; MemoryBound: 0
; FloatMode: 240
; IeeeMode: 1
; LDSByteSize: 13720 bytes/workgroup (compile time only)
; SGPRBlocks: 3
; VGPRBlocks: 21
; NumSGPRsForWavesPerEU: 26
; NumVGPRsForWavesPerEU: 87
; Occupancy: 2
; WaveLimiterHint : 1
; COMPUTE_PGM_RSRC2:SCRATCH_EN: 0
; COMPUTE_PGM_RSRC2:USER_SGPR: 6
; COMPUTE_PGM_RSRC2:TRAP_HANDLER: 0
; COMPUTE_PGM_RSRC2:TGID_X_EN: 1
; COMPUTE_PGM_RSRC2:TGID_Y_EN: 0
; COMPUTE_PGM_RSRC2:TGID_Z_EN: 0
; COMPUTE_PGM_RSRC2:TIDIG_COMP_CNT: 0
	.type	__hip_cuid_161f9d7eaa726792,@object ; @__hip_cuid_161f9d7eaa726792
	.section	.bss,"aw",@nobits
	.globl	__hip_cuid_161f9d7eaa726792
__hip_cuid_161f9d7eaa726792:
	.byte	0                               ; 0x0
	.size	__hip_cuid_161f9d7eaa726792, 1

	.ident	"AMD clang version 19.0.0git (https://github.com/RadeonOpenCompute/llvm-project roc-6.4.0 25133 c7fe45cf4b819c5991fe208aaa96edf142730f1d)"
	.section	".note.GNU-stack","",@progbits
	.addrsig
	.addrsig_sym __hip_cuid_161f9d7eaa726792
	.amdgpu_metadata
---
amdhsa.kernels:
  - .args:
      - .actual_access:  read_only
        .address_space:  global
        .offset:         0
        .size:           8
        .value_kind:     global_buffer
      - .actual_access:  read_only
        .address_space:  global
        .offset:         8
        .size:           8
        .value_kind:     global_buffer
      - .actual_access:  read_only
        .address_space:  global
        .offset:         16
        .size:           8
        .value_kind:     global_buffer
      - .actual_access:  read_only
        .address_space:  global
        .offset:         24
        .size:           8
        .value_kind:     global_buffer
      - .actual_access:  read_only
        .address_space:  global
        .offset:         32
        .size:           8
        .value_kind:     global_buffer
      - .offset:         40
        .size:           8
        .value_kind:     by_value
      - .address_space:  global
        .offset:         48
        .size:           8
        .value_kind:     global_buffer
      - .address_space:  global
        .offset:         56
        .size:           8
        .value_kind:     global_buffer
      - .address_space:  global
        .offset:         64
        .size:           8
        .value_kind:     global_buffer
      - .address_space:  global
        .offset:         72
        .size:           8
        .value_kind:     global_buffer
      - .offset:         80
        .size:           4
        .value_kind:     by_value
      - .address_space:  global
        .offset:         88
        .size:           8
        .value_kind:     global_buffer
      - .address_space:  global
        .offset:         96
        .size:           8
        .value_kind:     global_buffer
    .group_segment_fixed_size: 13720
    .kernarg_segment_align: 8
    .kernarg_segment_size: 104
    .language:       OpenCL C
    .language_version:
      - 2
      - 0
    .max_flat_workgroup_size: 245
    .name:           bluestein_single_fwd_len1715_dim1_sp_op_CI_CI
    .private_segment_fixed_size: 0
    .sgpr_count:     26
    .sgpr_spill_count: 0
    .symbol:         bluestein_single_fwd_len1715_dim1_sp_op_CI_CI.kd
    .uniform_work_group_size: 1
    .uses_dynamic_stack: false
    .vgpr_count:     87
    .vgpr_spill_count: 0
    .wavefront_size: 64
amdhsa.target:   amdgcn-amd-amdhsa--gfx906
amdhsa.version:
  - 1
  - 2
...

	.end_amdgpu_metadata
